;; amdgpu-corpus repo=zjin-lcf/HeCBench kind=compiled arch=gfx906 opt=O3
	.amdgcn_target "amdgcn-amd-amdhsa--gfx906"
	.amdhsa_code_object_version 6
	.text
	.protected	_Z7presentiiPKhS0_PhS0_S0_S0_S0_S0_ ; -- Begin function _Z7presentiiPKhS0_PhS0_S0_S0_S0_S0_
	.globl	_Z7presentiiPKhS0_PhS0_S0_S0_S0_S0_
	.p2align	8
	.type	_Z7presentiiPKhS0_PhS0_S0_S0_S0_S0_,@function
_Z7presentiiPKhS0_PhS0_S0_S0_S0_S0_:    ; @_Z7presentiiPKhS0_PhS0_S0_S0_S0_S0_
; %bb.0:
	s_load_dword s2, s[4:5], 0x54
	s_load_dwordx2 s[0:1], s[4:5], 0x0
	s_waitcnt lgkmcnt(0)
	s_and_b32 s2, s2, 0xffff
	s_mul_i32 s6, s6, s2
	v_add_u32_e32 v0, s6, v0
	v_cmp_gt_i32_e32 vcc, s0, v0
	s_and_saveexec_b64 s[2:3], vcc
	s_cbranch_execz .LBB0_7
; %bb.1:
	s_load_dwordx8 s[8:15], s[4:5], 0x8
	v_mul_lo_u32 v2, v0, 10
	v_lshlrev_b32_e32 v6, 3, v0
	v_ashrrev_i32_e32 v7, 31, v6
	s_load_dwordx8 s[16:23], s[4:5], 0x28
	s_waitcnt lgkmcnt(0)
	v_mov_b32_e32 v1, s9
	v_add_co_u32_e32 v0, vcc, s8, v6
	v_addc_co_u32_e32 v1, vcc, v1, v7, vcc
	v_ashrrev_i32_e32 v3, 31, v2
	v_mov_b32_e32 v5, s11
	v_add_co_u32_e32 v4, vcc, s10, v2
	v_addc_co_u32_e32 v5, vcc, v5, v3, vcc
	global_load_dwordx2 v[2:3], v[4:5], off
	global_load_ushort v8, v[4:5], off offset:8
	v_mov_b32_e32 v11, s23
	global_load_dwordx2 v[0:1], v[0:1], off
	v_mov_b32_e32 v13, s19
	v_mov_b32_e32 v19, s23
	;; [unrolled: 1-line block ×9, first 2 shown]
	s_cmp_lt_i32 s1, 2
	s_mov_b32 s0, 2
	s_waitcnt vmcnt(2)
	v_lshrrev_b64 v[4:5], 24, v[2:3]
	v_lshrrev_b32_e32 v9, 8, v2
	v_lshrrev_b32_e32 v10, 8, v3
	s_waitcnt vmcnt(0)
	v_xor_b32_e32 v5, v2, v0
	v_lshrrev_b32_e32 v14, 8, v0
	v_and_b32_e32 v26, 0xff, v5
	v_lshrrev_b32_e32 v15, 8, v1
	v_xor_b32_sdwa v12, v2, v0 dst_sel:DWORD dst_unused:UNUSED_PAD src0_sel:WORD_1 src1_sel:WORD_1
	v_xor_b32_e32 v29, v9, v14
	v_add_co_u32_e32 v14, vcc, s22, v26
	v_xor_b32_e32 v16, v3, v1
	v_and_b32_e32 v24, 0xff, v12
	v_xor_b32_e32 v32, v10, v15
	v_addc_co_u32_e32 v15, vcc, 0, v11, vcc
	v_xor_b32_sdwa v17, v3, v1 dst_sel:DWORD dst_unused:UNUSED_PAD src0_sel:WORD_1 src1_sel:WORD_1
	v_and_b32_e32 v12, 0xff, v16
	v_add_co_u32_e32 v16, vcc, s18, v24
	v_and_b32_e32 v5, 0xff, v17
	v_addc_co_u32_e32 v17, vcc, 0, v13, vcc
	v_add_co_u32_e32 v18, vcc, s22, v12
	v_addc_co_u32_e32 v19, vcc, 0, v19, vcc
	v_add_co_u32_e32 v20, vcc, s18, v5
	;; [unrolled: 2-line block ×3, first 2 shown]
	v_addc_co_u32_e32 v28, vcc, 0, v22, vcc
	v_xor_b32_sdwa v37, v4, v0 dst_sel:DWORD dst_unused:UNUSED_PAD src0_sel:DWORD src1_sel:BYTE_3
	v_and_b32_e32 v0, 0xff, v32
	v_add_co_u32_e32 v32, vcc, s20, v24
	v_and_b32_e32 v29, 0xff, v29
	v_addc_co_u32_e32 v33, vcc, 0, v30, vcc
	v_add_co_u32_e32 v34, vcc, s20, v29
	v_addc_co_u32_e32 v35, vcc, 0, v23, vcc
	global_load_ubyte v14, v[14:15], off
	s_nop 0
	global_load_ubyte v11, v[16:17], off
	global_load_ubyte v15, v[18:19], off
	v_add_co_u32_e32 v16, vcc, s20, v0
	v_addc_co_u32_e32 v17, vcc, 0, v25, vcc
	v_and_b32_e32 v30, 0xff, v37
	global_load_ubyte v13, v[20:21], off
	global_load_ubyte v25, v[34:35], off
	;; [unrolled: 1-line block ×3, first 2 shown]
	v_add_co_u32_e32 v16, vcc, s16, v30
	v_addc_co_u32_e32 v17, vcc, 0, v31, vcc
	global_load_ubyte v21, v[16:17], off
	global_load_ubyte v31, v[27:28], off
	v_add_co_u32_e32 v16, vcc, s16, v12
	v_addc_co_u32_e32 v17, vcc, 0, v36, vcc
	v_mov_b32_e32 v18, s21
	v_add_co_u32_e32 v34, vcc, s20, v5
	v_addc_co_u32_e32 v35, vcc, 0, v18, vcc
	v_mov_b32_e32 v18, s19
	;; [unrolled: 3-line block ×5, first 2 shown]
	v_add_co_u32_e32 v27, vcc, s22, v29
	v_addc_co_u32_e32 v28, vcc, 0, v18, vcc
	global_load_ubyte v23, v[32:33], off
	global_load_ubyte v19, v[16:17], off
	v_mov_b32_e32 v16, s23
	v_add_co_u32_e32 v42, vcc, s22, v0
	v_addc_co_u32_e32 v43, vcc, 0, v16, vcc
	v_mov_b32_e32 v17, s17
	v_add_co_u32_e32 v33, vcc, s16, v29
	global_load_ubyte v20, v[34:35], off
	global_load_ubyte v16, v[36:37], off
	v_addc_co_u32_e32 v34, vcc, 0, v17, vcc
	v_mov_b32_e32 v32, s17
	v_add_co_u32_e32 v35, vcc, s16, v0
	v_addc_co_u32_e32 v36, vcc, 0, v32, vcc
	v_xor_b32_sdwa v1, v3, v1 dst_sel:DWORD dst_unused:UNUSED_PAD src0_sel:BYTE_3 src1_sel:BYTE_3
	global_load_ubyte v18, v[38:39], off
	global_load_ubyte v17, v[40:41], off
	;; [unrolled: 1-line block ×3, first 2 shown]
	v_mov_b32_e32 v27, s19
	v_add_co_u32_e32 v37, vcc, s18, v30
	v_addc_co_u32_e32 v38, vcc, 0, v27, vcc
	global_load_ubyte v28, v[42:43], off
	global_load_ubyte v27, v[33:34], off
	global_load_ubyte v39, v1, s[16:17]
	v_mov_b32_e32 v34, s21
	v_add_co_u32_e32 v33, vcc, s20, v30
	v_addc_co_u32_e32 v34, vcc, 0, v34, vcc
	global_load_ubyte v38, v[37:38], off
	s_nop 0
	global_load_ubyte v34, v[33:34], off
	s_nop 0
	global_load_ubyte v33, v[35:36], off
	v_mov_b32_e32 v36, s23
	v_add_co_u32_e32 v35, vcc, s22, v5
	v_addc_co_u32_e32 v36, vcc, 0, v36, vcc
	global_load_ubyte v35, v[35:36], off
	v_mov_b32_e32 v37, s21
	v_add_co_u32_e32 v36, vcc, s20, v26
	v_addc_co_u32_e32 v37, vcc, 0, v37, vcc
	;; [unrolled: 4-line block ×4, first 2 shown]
	global_load_ubyte v40, v1, s[18:19]
	global_load_ubyte v24, v[36:37], off
	v_mov_b32_e32 v37, s23
	v_add_co_u32_e32 v36, vcc, s22, v30
	v_addc_co_u32_e32 v37, vcc, 0, v37, vcc
	global_load_ubyte v30, v[36:37], off
	v_mov_b32_e32 v37, s21
	v_add_co_u32_e32 v36, vcc, s20, v12
	v_addc_co_u32_e32 v37, vcc, 0, v37, vcc
	global_load_ubyte v41, v[36:37], off
	global_load_ubyte v42, v1, s[20:21]
	v_mov_b32_e32 v12, s19
	v_add_co_u32_e32 v36, vcc, s18, v0
	v_addc_co_u32_e32 v37, vcc, 0, v12, vcc
	global_load_ubyte v43, v[36:37], off
	v_mov_b32_e32 v0, s17
	v_add_co_u32_e32 v36, vcc, s16, v5
	v_addc_co_u32_e32 v37, vcc, 0, v0, vcc
	global_load_ubyte v36, v[36:37], off
	s_nop 0
	global_load_ubyte v37, v1, s[22:23]
	v_mov_b32_e32 v1, s13
	v_add_co_u32_e32 v0, vcc, s12, v6
	s_waitcnt vmcnt(31)
	v_and_b32_e32 v5, 0xc0, v14
	s_waitcnt vmcnt(27)
	v_and_b32_e32 v6, 48, v25
	v_addc_co_u32_e32 v1, vcc, v1, v7, vcc
	v_or_b32_e32 v5, v6, v5
	v_and_b32_e32 v6, 0xc0, v15
	s_waitcnt vmcnt(26)
	v_and_b32_e32 v7, 48, v22
	v_or_b32_e32 v6, v7, v6
	v_and_b32_e32 v7, 12, v11
	v_or_b32_e32 v5, v5, v7
	v_and_b32_e32 v7, 12, v13
	v_or_b32_e32 v6, v6, v7
	s_waitcnt vmcnt(25)
	v_and_b32_e32 v7, 3, v21
	v_or_b32_e32 v7, v5, v7
	v_mov_b32_e32 v21, 5
	s_waitcnt vmcnt(14)
	v_and_b32_e32 v5, 3, v39
	v_or_b32_sdwa v11, v6, v5 dst_sel:BYTE_1 dst_unused:UNUSED_PAD src0_sel:DWORD src1_sel:DWORD
	v_and_b32_e32 v5, 0xffffffc0, v31
	v_and_b32_e32 v6, 48, v32
	v_or_b32_e32 v12, v6, v5
	v_lshrrev_b16_e32 v5, 3, v8
	v_and_b32_e32 v5, 31, v5
	v_lshlrev_b16_sdwa v6, v21, v3 dst_sel:DWORD dst_unused:UNUSED_PAD src0_sel:DWORD src1_sel:BYTE_3
	v_or_b32_e32 v22, v6, v5
	v_lshrrev_b16_e32 v5, 4, v22
	v_and_b32_e32 v5, 15, v5
	v_and_b32_e32 v5, 0xffff, v5
	v_mov_b32_e32 v6, s15
	v_add_co_u32_e32 v5, vcc, s14, v5
	v_addc_co_u32_e32 v6, vcc, 0, v6, vcc
	global_load_ubyte v25, v[5:6], off
	v_and_b32_e32 v5, 12, v23
	v_or_b32_e32 v5, v12, v5
	s_waitcnt vmcnt(14)
	v_and_b32_e32 v6, 3, v38
	v_or_b32_e32 v12, v5, v6
	v_and_b32_e32 v5, 0xffffffc0, v19
	v_and_b32_e32 v6, 48, v28
	v_or_b32_e32 v5, v6, v5
	v_and_b32_e32 v6, 12, v20
	v_or_b32_e32 v5, v5, v6
	s_waitcnt vmcnt(8)
	v_and_b32_e32 v6, 3, v40
	v_or_b32_e32 v13, v5, v6
	v_and_b32_e32 v5, 0xffffffc0, v16
	v_and_b32_e32 v6, 48, v27
	v_or_b32_e32 v5, v6, v5
	v_and_b32_e32 v6, 12, v18
	v_or_b32_e32 v5, v5, v6
	;; [unrolled: 2-line block ×3, first 2 shown]
	v_and_b32_e32 v5, 0xffffffc0, v17
	v_and_b32_e32 v6, 48, v33
	v_or_b32_e32 v5, v6, v5
	v_and_b32_e32 v6, 12, v35
	v_or_b32_e32 v5, v5, v6
	s_waitcnt vmcnt(4)
	v_and_b32_e32 v6, 3, v42
	v_or_b32_e32 v15, v5, v6
	v_and_b32_e32 v5, 0xffffffc0, v26
	v_and_b32_e32 v6, 48, v29
	v_or_b32_e32 v5, v6, v5
	v_and_b32_e32 v6, 12, v24
	v_or_b32_e32 v5, v5, v6
	;; [unrolled: 2-line block ×3, first 2 shown]
	v_and_b32_e32 v5, 0xffffffc0, v41
	s_waitcnt vmcnt(3)
	v_and_b32_e32 v6, 48, v43
	v_or_b32_e32 v5, v6, v5
	s_waitcnt vmcnt(2)
	v_and_b32_e32 v6, 12, v36
	v_or_b32_e32 v5, v5, v6
	;; [unrolled: 3-line block ×3, first 2 shown]
	v_lshlrev_b16_e32 v5, 8, v15
	v_lshlrev_b16_e32 v6, 8, v17
	v_or_b32_sdwa v5, v14, v5 dst_sel:DWORD dst_unused:UNUSED_PAD src0_sel:BYTE_0 src1_sel:DWORD
	v_or_b32_sdwa v6, v16, v6 dst_sel:WORD_1 dst_unused:UNUSED_PAD src0_sel:BYTE_0 src1_sel:DWORD
	v_or_b32_sdwa v6, v5, v6 dst_sel:DWORD dst_unused:UNUSED_PAD src0_sel:WORD_0 src1_sel:DWORD
	v_or_b32_e32 v5, v7, v11
	v_lshlrev_b16_e32 v7, 8, v13
	v_or_b32_sdwa v7, v12, v7 dst_sel:WORD_1 dst_unused:UNUSED_PAD src0_sel:BYTE_0 src1_sel:DWORD
	v_or_b32_sdwa v5, v5, v7 dst_sel:DWORD dst_unused:UNUSED_PAD src0_sel:WORD_0 src1_sel:DWORD
	global_store_dwordx2 v[0:1], v[5:6], off
	v_lshrrev_b16_e32 v6, 3, v10
	v_lshlrev_b16_e32 v5, 5, v3
	v_and_b32_e32 v6, 31, v6
	v_or_b32_e32 v11, v5, v6
	v_lshrrev_b16_e32 v5, 3, v3
	v_and_b32_e32 v5, 31, v5
	v_lshlrev_b16_e32 v6, 5, v4
	v_lshrrev_b16_e32 v4, 3, v4
	v_or_b32_e32 v5, v6, v5
	v_and_b32_e32 v4, 31, v4
	v_lshlrev_b16_sdwa v6, v21, v2 dst_sel:DWORD dst_unused:UNUSED_PAD src0_sel:DWORD src1_sel:WORD_1
	v_or_b32_e32 v7, v6, v4
	v_lshrrev_b32_e32 v4, 19, v2
	v_and_b32_e32 v4, 31, v4
	v_lshlrev_b16_e32 v6, 5, v9
	v_or_b32_e32 v4, v6, v4
	v_lshrrev_b16_e32 v6, 3, v9
	v_and_b32_e32 v6, 31, v6
	v_lshlrev_b16_e32 v9, 5, v2
	v_lshrrev_b16_e32 v2, 3, v2
	v_lshrrev_b32_e32 v18, 8, v8
	v_or_b32_e32 v6, v9, v6
	v_and_b32_e32 v2, 31, v2
	v_lshlrev_b16_e32 v9, 5, v18
	v_or_b32_e32 v9, v9, v2
	v_lshlrev_b16_e32 v2, 5, v8
	v_lshrrev_b16_e32 v8, 3, v18
	v_and_b32_e32 v8, 31, v8
	v_or_b32_e32 v2, v2, v8
	v_and_b32_e32 v8, 15, v22
	s_waitcnt vmcnt(1)
	v_or_b32_e32 v8, v8, v25
	s_cbranch_scc1 .LBB0_5
; %bb.2:
	global_load_ushort v18, v[0:1], off
	v_mov_b32_e32 v19, 3
	v_lshrrev_b16_sdwa v20, v19, v3 dst_sel:DWORD dst_unused:UNUSED_PAD src0_sel:DWORD src1_sel:WORD_1
	v_lshlrev_b16_e32 v10, 5, v10
	v_and_b32_e32 v20, 31, v20
	v_or_b32_e32 v10, v10, v20
	v_lshrrev_b16_sdwa v19, v19, v3 dst_sel:DWORD dst_unused:UNUSED_PAD src0_sel:DWORD src1_sel:BYTE_3
	v_lshlrev_b16_sdwa v3, v21, v3 dst_sel:DWORD dst_unused:UNUSED_PAD src0_sel:DWORD src1_sel:WORD_1
	v_xor_b32_e32 v10, 0xffffff80, v10
	v_or_b32_e32 v3, v3, v19
	s_waitcnt vmcnt(0)
	v_lshrrev_b16_e32 v20, 8, v18
.LBB0_3:                                ; =>This Inner Loop Header: Depth=1
	v_xor_b32_e32 v18, v18, v8
	v_and_b32_e32 v33, 0xff, v18
	v_xor_b32_e32 v19, v20, v2
	v_xor_b32_e32 v20, v13, v6
	;; [unrolled: 1-line block ×3, first 2 shown]
	v_mov_b32_e32 v13, s23
	v_add_co_u32_e32 v14, vcc, s22, v33
	v_xor_b32_e32 v22, v15, v7
	v_addc_co_u32_e32 v15, vcc, 0, v13, vcc
	v_and_b32_e32 v34, 0xff, v19
	v_xor_b32_e32 v12, v12, v9
	global_load_ubyte v14, v[14:15], off
	v_mov_b32_e32 v24, s21
	v_add_co_u32_e32 v15, vcc, s20, v34
	v_xor_b32_e32 v23, v16, v5
	v_addc_co_u32_e32 v16, vcc, 0, v24, vcc
	v_and_b32_e32 v36, 0xff, v12
	v_xor_b32_e32 v29, v17, v11
	global_load_ubyte v17, v[15:16], off
	v_mov_b32_e32 v26, s19
	v_add_co_u32_e32 v15, vcc, s18, v36
	v_addc_co_u32_e32 v16, vcc, 0, v26, vcc
	v_and_b32_e32 v39, 0xff, v20
	global_load_ubyte v18, v[15:16], off
	v_mov_b32_e32 v27, s17
	v_add_co_u32_e32 v15, vcc, s16, v39
	v_addc_co_u32_e32 v16, vcc, 0, v27, vcc
	v_and_b32_e32 v40, 0xff, v21
	global_load_ubyte v20, v[15:16], off
	v_add_co_u32_e32 v15, vcc, s22, v40
	v_addc_co_u32_e32 v16, vcc, 0, v13, vcc
	v_and_b32_e32 v41, 0xff, v22
	global_load_ubyte v25, v[15:16], off
	;; [unrolled: 4-line block ×4, first 2 shown]
	v_add_co_u32_e32 v15, vcc, s16, v44
	v_addc_co_u32_e32 v16, vcc, 0, v27, vcc
	v_add_co_u32_e32 v21, vcc, s16, v33
	v_addc_co_u32_e32 v22, vcc, 0, v27, vcc
	global_load_ubyte v37, v[15:16], off
	global_load_ubyte v12, v[21:22], off
	v_add_co_u32_e32 v15, vcc, s22, v34
	v_addc_co_u32_e32 v16, vcc, 0, v13, vcc
	v_add_co_u32_e32 v21, vcc, s20, v36
	v_addc_co_u32_e32 v22, vcc, 0, v24, vcc
	global_load_ubyte v15, v[15:16], off
	s_lshl_b32 s2, s0, 2
	global_load_ubyte v16, v[21:22], off
	v_add_co_u32_e32 v21, vcc, s18, v39
	v_addc_co_u32_e32 v22, vcc, 0, v26, vcc
	global_load_ubyte v19, v[21:22], off
	v_add_co_u32_e32 v21, vcc, s16, v40
	v_addc_co_u32_e32 v22, vcc, 0, v27, vcc
	;; [unrolled: 3-line block ×3, first 2 shown]
	v_add_co_u32_e32 v29, vcc, s20, v43
	v_addc_co_u32_e32 v30, vcc, 0, v24, vcc
	global_load_ubyte v22, v[22:23], off
	v_xor_b32_e32 v7, s2, v7
	global_load_ubyte v23, v[29:30], off
	v_add_co_u32_e32 v29, vcc, s18, v44
	v_addc_co_u32_e32 v30, vcc, 0, v26, vcc
	v_add_co_u32_e32 v45, vcc, s18, v33
	v_addc_co_u32_e32 v46, vcc, 0, v26, vcc
	global_load_ubyte v29, v[29:30], off
	s_nop 0
	global_load_ubyte v30, v[45:46], off
	v_add_co_u32_e32 v45, vcc, s16, v34
	v_addc_co_u32_e32 v46, vcc, 0, v27, vcc
	global_load_ubyte v32, v[45:46], off
	v_add_co_u32_e32 v45, vcc, s22, v36
	v_addc_co_u32_e32 v46, vcc, 0, v13, vcc
	;; [unrolled: 3-line block ×7, first 2 shown]
	v_add_co_u32_e32 v49, vcc, s20, v33
	v_addc_co_u32_e32 v50, vcc, 0, v24, vcc
	global_load_ubyte v33, v[47:48], off
	s_nop 0
	global_load_ubyte v47, v[49:50], off
	v_add_co_u32_e32 v48, vcc, s18, v34
	v_addc_co_u32_e32 v49, vcc, 0, v26, vcc
	global_load_ubyte v34, v[48:49], off
	v_add_co_u32_e32 v48, vcc, s16, v36
	v_addc_co_u32_e32 v49, vcc, 0, v27, vcc
	;; [unrolled: 3-line block ×4, first 2 shown]
	v_add_co_u32_e32 v40, vcc, s18, v41
	v_addc_co_u32_e32 v41, vcc, 0, v26, vcc
	v_add_co_u32_e32 v26, vcc, s16, v43
	v_addc_co_u32_e32 v27, vcc, 0, v27, vcc
	global_load_ubyte v40, v[40:41], off
	s_waitcnt vmcnt(20)
	v_and_b32_e32 v12, 0xffffffc0, v12
	global_load_ubyte v41, v[26:27], off
	v_add_co_u32_e32 v26, vcc, s22, v44
	global_load_ubyte v24, v[48:49], off
	v_addc_co_u32_e32 v27, vcc, 0, v13, vcc
	v_and_b32_e32 v13, 0xffffffc0, v14
	v_and_b32_e32 v14, 48, v17
	v_or_b32_e32 v13, v14, v13
	v_and_b32_e32 v14, 12, v18
	global_load_ubyte v26, v[26:27], off
	v_or_b32_e32 v13, v13, v14
	v_and_b32_e32 v14, 3, v20
	v_or_b32_e32 v18, v13, v14
	v_and_b32_e32 v13, 0xffffffc0, v25
	v_and_b32_e32 v14, 48, v28
	v_or_b32_e32 v13, v14, v13
	v_and_b32_e32 v14, 12, v31
	v_or_b32_e32 v13, v13, v14
	v_and_b32_e32 v14, 3, v37
	v_or_b32_e32 v20, v13, v14
	v_lshrrev_b16_e32 v13, 3, v10
	v_and_b32_e32 v13, 31, v13
	v_lshlrev_b16_e32 v14, 5, v11
	v_or_b32_e32 v25, v14, v13
	v_lshrrev_b16_e32 v13, 4, v25
	v_and_b32_e32 v13, 15, v13
	v_and_b32_e32 v13, 0xffff, v13
	v_mov_b32_e32 v14, s15
	v_add_co_u32_e32 v13, vcc, s14, v13
	v_addc_co_u32_e32 v14, vcc, 0, v14, vcc
	global_load_ubyte v27, v[13:14], off
	s_waitcnt vmcnt(23)
	v_and_b32_e32 v13, 48, v15
	v_or_b32_e32 v12, v13, v12
	s_waitcnt vmcnt(22)
	v_and_b32_e32 v13, 12, v16
	v_or_b32_e32 v12, v12, v13
	s_waitcnt vmcnt(21)
	v_and_b32_e32 v13, 3, v19
	v_or_b32_e32 v12, v12, v13
	s_waitcnt vmcnt(20)
	v_and_b32_e32 v13, 0xffffffc0, v21
	s_waitcnt vmcnt(19)
	v_and_b32_e32 v14, 48, v22
	v_or_b32_e32 v13, v14, v13
	s_waitcnt vmcnt(18)
	v_and_b32_e32 v14, 12, v23
	v_or_b32_e32 v13, v13, v14
	s_waitcnt vmcnt(17)
	v_and_b32_e32 v14, 3, v29
	v_or_b32_e32 v13, v13, v14
	s_waitcnt vmcnt(16)
	v_and_b32_e32 v14, 0xffffffc0, v30
	;; [unrolled: 11-line block ×4, first 2 shown]
	s_waitcnt vmcnt(7)
	v_and_b32_e32 v17, 48, v34
	v_or_b32_e32 v16, v17, v16
	s_waitcnt vmcnt(6)
	v_and_b32_e32 v17, 12, v36
	v_or_b32_e32 v16, v16, v17
	;; [unrolled: 3-line block ×3, first 2 shown]
	v_lshrrev_b16_e32 v11, 3, v11
	v_and_b32_e32 v11, 31, v11
	s_add_i32 s0, s0, 1
	s_and_b32 s2, s0, 0xff
	s_cmp_ge_u32 s1, s2
	s_waitcnt vmcnt(4)
	v_and_b32_e32 v19, 48, v40
	s_waitcnt vmcnt(2)
	v_and_b32_e32 v17, 0xffffffc0, v24
	v_or_b32_e32 v17, v19, v17
	v_and_b32_e32 v19, 12, v41
	v_or_b32_e32 v17, v17, v19
	s_waitcnt vmcnt(1)
	v_and_b32_e32 v19, 3, v26
	v_or_b32_e32 v17, v17, v19
	v_lshlrev_b16_e32 v19, 5, v5
	v_lshrrev_b16_e32 v5, 3, v5
	v_or_b32_e32 v19, v19, v11
	v_and_b32_e32 v5, 31, v5
	v_lshlrev_b16_e32 v11, 5, v7
	v_lshrrev_b16_e32 v7, 3, v7
	v_or_b32_e32 v21, v11, v5
	v_lshlrev_b16_e32 v5, 5, v4
	v_and_b32_e32 v7, 31, v7
	v_lshrrev_b16_e32 v4, 3, v4
	v_or_b32_e32 v11, v5, v7
	v_lshlrev_b16_e32 v5, 5, v6
	v_and_b32_e32 v4, 31, v4
	;; [unrolled: 4-line block ×3, first 2 shown]
	v_or_b32_e32 v7, v4, v6
	v_lshrrev_b16_e32 v6, 3, v9
	v_lshlrev_b16_e32 v4, 5, v2
	v_and_b32_e32 v6, 31, v6
	v_lshrrev_b16_e32 v2, 3, v2
	v_or_b32_e32 v4, v4, v6
	v_lshlrev_b16_e32 v6, 5, v8
	v_and_b32_e32 v2, 31, v2
	v_lshrrev_b16_e32 v8, 3, v8
	v_or_b32_e32 v6, v6, v2
	v_lshlrev_b16_e32 v2, 5, v3
	v_and_b32_e32 v8, 31, v8
	v_lshrrev_b16_e32 v3, 3, v3
	v_or_b32_e32 v9, v2, v8
	v_lshlrev_b16_e32 v2, 5, v10
	v_and_b32_e32 v3, 31, v3
	v_or_b32_e32 v2, v2, v3
	v_and_b32_e32 v3, 15, v25
	s_waitcnt vmcnt(0)
	v_or_b32_e32 v8, v27, v3
	v_mov_b32_e32 v10, v21
	v_mov_b32_e32 v3, v19
	s_cbranch_scc1 .LBB0_3
; %bb.4:
	s_mov_b32 s0, 0xc0c0004
	v_perm_b32 v3, v14, v15, s0
	v_perm_b32 v10, v16, v17, s0
	v_lshl_or_b32 v19, v10, 16, v3
	v_perm_b32 v3, v18, v20, s0
	v_perm_b32 v10, v12, v13, s0
	v_lshl_or_b32 v18, v10, 16, v3
	global_store_dwordx2 v[0:1], v[18:19], off
.LBB0_5:
	s_cmp_lg_u32 s1, 31
	s_cbranch_scc1 .LBB0_7
; %bb.6:
	global_load_ushort v10, v[0:1], off
	v_xor_b32_e32 v3, v14, v4
	v_xor_b32_sdwa v4, v15, v7 dst_sel:BYTE_1 dst_unused:UNUSED_PAD src0_sel:DWORD src1_sel:DWORD
	v_xor_b32_e32 v5, v16, v5
	v_xor_b32_sdwa v7, v17, v11 dst_sel:BYTE_1 dst_unused:UNUSED_PAD src0_sel:DWORD src1_sel:DWORD
	v_or_b32_sdwa v3, v3, v4 dst_sel:DWORD dst_unused:UNUSED_PAD src0_sel:BYTE_0 src1_sel:DWORD
	v_or_b32_sdwa v4, v5, v7 dst_sel:WORD_1 dst_unused:UNUSED_PAD src0_sel:BYTE_0 src1_sel:DWORD
	v_xor_b32_e32 v9, v12, v9
	v_xor_b32_sdwa v6, v13, v6 dst_sel:BYTE_1 dst_unused:UNUSED_PAD src0_sel:DWORD src1_sel:DWORD
	v_or_b32_sdwa v3, v3, v4 dst_sel:DWORD dst_unused:UNUSED_PAD src0_sel:WORD_0 src1_sel:DWORD
	s_waitcnt vmcnt(0)
	v_xor_b32_e32 v4, v10, v8
	v_xor_b32_sdwa v2, v10, v2 dst_sel:BYTE_1 dst_unused:UNUSED_PAD src0_sel:BYTE_1 src1_sel:DWORD
	v_or_b32_sdwa v2, v4, v2 dst_sel:DWORD dst_unused:UNUSED_PAD src0_sel:BYTE_0 src1_sel:DWORD
	v_or_b32_sdwa v4, v9, v6 dst_sel:WORD_1 dst_unused:UNUSED_PAD src0_sel:BYTE_0 src1_sel:DWORD
	v_or_b32_sdwa v2, v2, v4 dst_sel:DWORD dst_unused:UNUSED_PAD src0_sel:WORD_0 src1_sel:DWORD
	global_store_dwordx2 v[0:1], v[2:3], off
.LBB0_7:
	s_endpgm
	.section	.rodata,"a",@progbits
	.p2align	6, 0x0
	.amdhsa_kernel _Z7presentiiPKhS0_PhS0_S0_S0_S0_S0_
		.amdhsa_group_segment_fixed_size 0
		.amdhsa_private_segment_fixed_size 0
		.amdhsa_kernarg_size 328
		.amdhsa_user_sgpr_count 6
		.amdhsa_user_sgpr_private_segment_buffer 1
		.amdhsa_user_sgpr_dispatch_ptr 0
		.amdhsa_user_sgpr_queue_ptr 0
		.amdhsa_user_sgpr_kernarg_segment_ptr 1
		.amdhsa_user_sgpr_dispatch_id 0
		.amdhsa_user_sgpr_flat_scratch_init 0
		.amdhsa_user_sgpr_private_segment_size 0
		.amdhsa_uses_dynamic_stack 0
		.amdhsa_system_sgpr_private_segment_wavefront_offset 0
		.amdhsa_system_sgpr_workgroup_id_x 1
		.amdhsa_system_sgpr_workgroup_id_y 0
		.amdhsa_system_sgpr_workgroup_id_z 0
		.amdhsa_system_sgpr_workgroup_info 0
		.amdhsa_system_vgpr_workitem_id 0
		.amdhsa_next_free_vgpr 51
		.amdhsa_next_free_sgpr 24
		.amdhsa_reserve_vcc 1
		.amdhsa_reserve_flat_scratch 0
		.amdhsa_float_round_mode_32 0
		.amdhsa_float_round_mode_16_64 0
		.amdhsa_float_denorm_mode_32 3
		.amdhsa_float_denorm_mode_16_64 3
		.amdhsa_dx10_clamp 1
		.amdhsa_ieee_mode 1
		.amdhsa_fp16_overflow 0
		.amdhsa_exception_fp_ieee_invalid_op 0
		.amdhsa_exception_fp_denorm_src 0
		.amdhsa_exception_fp_ieee_div_zero 0
		.amdhsa_exception_fp_ieee_overflow 0
		.amdhsa_exception_fp_ieee_underflow 0
		.amdhsa_exception_fp_ieee_inexact 0
		.amdhsa_exception_int_div_zero 0
	.end_amdhsa_kernel
	.text
.Lfunc_end0:
	.size	_Z7presentiiPKhS0_PhS0_S0_S0_S0_S0_, .Lfunc_end0-_Z7presentiiPKhS0_PhS0_S0_S0_S0_S0_
                                        ; -- End function
	.set _Z7presentiiPKhS0_PhS0_S0_S0_S0_S0_.num_vgpr, 51
	.set _Z7presentiiPKhS0_PhS0_S0_S0_S0_S0_.num_agpr, 0
	.set _Z7presentiiPKhS0_PhS0_S0_S0_S0_S0_.numbered_sgpr, 24
	.set _Z7presentiiPKhS0_PhS0_S0_S0_S0_S0_.num_named_barrier, 0
	.set _Z7presentiiPKhS0_PhS0_S0_S0_S0_S0_.private_seg_size, 0
	.set _Z7presentiiPKhS0_PhS0_S0_S0_S0_S0_.uses_vcc, 1
	.set _Z7presentiiPKhS0_PhS0_S0_S0_S0_S0_.uses_flat_scratch, 0
	.set _Z7presentiiPKhS0_PhS0_S0_S0_S0_S0_.has_dyn_sized_stack, 0
	.set _Z7presentiiPKhS0_PhS0_S0_S0_S0_S0_.has_recursion, 0
	.set _Z7presentiiPKhS0_PhS0_S0_S0_S0_S0_.has_indirect_call, 0
	.section	.AMDGPU.csdata,"",@progbits
; Kernel info:
; codeLenInByte = 2948
; TotalNumSgprs: 28
; NumVgprs: 51
; ScratchSize: 0
; MemoryBound: 0
; FloatMode: 240
; IeeeMode: 1
; LDSByteSize: 0 bytes/workgroup (compile time only)
; SGPRBlocks: 3
; VGPRBlocks: 12
; NumSGPRsForWavesPerEU: 28
; NumVGPRsForWavesPerEU: 51
; Occupancy: 4
; WaveLimiterHint : 1
; COMPUTE_PGM_RSRC2:SCRATCH_EN: 0
; COMPUTE_PGM_RSRC2:USER_SGPR: 6
; COMPUTE_PGM_RSRC2:TRAP_HANDLER: 0
; COMPUTE_PGM_RSRC2:TGID_X_EN: 1
; COMPUTE_PGM_RSRC2:TGID_Y_EN: 0
; COMPUTE_PGM_RSRC2:TGID_Z_EN: 0
; COMPUTE_PGM_RSRC2:TIDIG_COMP_CNT: 0
	.section	.AMDGPU.gpr_maximums,"",@progbits
	.set amdgpu.max_num_vgpr, 0
	.set amdgpu.max_num_agpr, 0
	.set amdgpu.max_num_sgpr, 0
	.section	.AMDGPU.csdata,"",@progbits
	.type	__hip_cuid_5163f250d84be806,@object ; @__hip_cuid_5163f250d84be806
	.section	.bss,"aw",@nobits
	.globl	__hip_cuid_5163f250d84be806
__hip_cuid_5163f250d84be806:
	.byte	0                               ; 0x0
	.size	__hip_cuid_5163f250d84be806, 1

	.ident	"AMD clang version 22.0.0git (https://github.com/RadeonOpenCompute/llvm-project roc-7.2.4 26084 f58b06dce1f9c15707c5f808fd002e18c2accf7e)"
	.section	".note.GNU-stack","",@progbits
	.addrsig
	.addrsig_sym __hip_cuid_5163f250d84be806
	.amdgpu_metadata
---
amdhsa.kernels:
  - .args:
      - .offset:         0
        .size:           4
        .value_kind:     by_value
      - .offset:         4
        .size:           4
        .value_kind:     by_value
      - .actual_access:  read_only
        .address_space:  global
        .offset:         8
        .size:           8
        .value_kind:     global_buffer
      - .actual_access:  read_only
        .address_space:  global
        .offset:         16
        .size:           8
        .value_kind:     global_buffer
      - .address_space:  global
        .offset:         24
        .size:           8
        .value_kind:     global_buffer
      - .actual_access:  read_only
        .address_space:  global
        .offset:         32
        .size:           8
        .value_kind:     global_buffer
      - .actual_access:  read_only
        .address_space:  global
        .offset:         40
        .size:           8
        .value_kind:     global_buffer
      - .actual_access:  read_only
        .address_space:  global
        .offset:         48
        .size:           8
        .value_kind:     global_buffer
      - .actual_access:  read_only
        .address_space:  global
        .offset:         56
        .size:           8
        .value_kind:     global_buffer
      - .actual_access:  read_only
        .address_space:  global
        .offset:         64
        .size:           8
        .value_kind:     global_buffer
      - .offset:         72
        .size:           4
        .value_kind:     hidden_block_count_x
      - .offset:         76
        .size:           4
        .value_kind:     hidden_block_count_y
      - .offset:         80
        .size:           4
        .value_kind:     hidden_block_count_z
      - .offset:         84
        .size:           2
        .value_kind:     hidden_group_size_x
      - .offset:         86
        .size:           2
        .value_kind:     hidden_group_size_y
      - .offset:         88
        .size:           2
        .value_kind:     hidden_group_size_z
      - .offset:         90
        .size:           2
        .value_kind:     hidden_remainder_x
      - .offset:         92
        .size:           2
        .value_kind:     hidden_remainder_y
      - .offset:         94
        .size:           2
        .value_kind:     hidden_remainder_z
      - .offset:         112
        .size:           8
        .value_kind:     hidden_global_offset_x
      - .offset:         120
        .size:           8
        .value_kind:     hidden_global_offset_y
      - .offset:         128
        .size:           8
        .value_kind:     hidden_global_offset_z
      - .offset:         136
        .size:           2
        .value_kind:     hidden_grid_dims
    .group_segment_fixed_size: 0
    .kernarg_segment_align: 8
    .kernarg_segment_size: 328
    .language:       OpenCL C
    .language_version:
      - 2
      - 0
    .max_flat_workgroup_size: 1024
    .name:           _Z7presentiiPKhS0_PhS0_S0_S0_S0_S0_
    .private_segment_fixed_size: 0
    .sgpr_count:     28
    .sgpr_spill_count: 0
    .symbol:         _Z7presentiiPKhS0_PhS0_S0_S0_S0_S0_.kd
    .uniform_work_group_size: 1
    .uses_dynamic_stack: false
    .vgpr_count:     51
    .vgpr_spill_count: 0
    .wavefront_size: 64
amdhsa.target:   amdgcn-amd-amdhsa--gfx906
amdhsa.version:
  - 1
  - 2
...

	.end_amdgpu_metadata
